;; amdgpu-corpus repo=LLNL/RAJAPerf kind=compiled arch=gfx1250 opt=O3
	.amdgcn_target "amdgcn-amd-amdhsa--gfx1250"
	.amdhsa_code_object_version 6
	.section	.text._ZN8rajaperf4apps11deldotvec2dILm256EEEvPdS2_S2_S2_S2_S2_S2_S2_S2_S2_S2_S2_S2_S2_S2_S2_S2_Plddl,"axG",@progbits,_ZN8rajaperf4apps11deldotvec2dILm256EEEvPdS2_S2_S2_S2_S2_S2_S2_S2_S2_S2_S2_S2_S2_S2_S2_S2_Plddl,comdat
	.protected	_ZN8rajaperf4apps11deldotvec2dILm256EEEvPdS2_S2_S2_S2_S2_S2_S2_S2_S2_S2_S2_S2_S2_S2_S2_S2_Plddl ; -- Begin function _ZN8rajaperf4apps11deldotvec2dILm256EEEvPdS2_S2_S2_S2_S2_S2_S2_S2_S2_S2_S2_S2_S2_S2_S2_S2_Plddl
	.globl	_ZN8rajaperf4apps11deldotvec2dILm256EEEvPdS2_S2_S2_S2_S2_S2_S2_S2_S2_S2_S2_S2_S2_S2_S2_S2_Plddl
	.p2align	8
	.type	_ZN8rajaperf4apps11deldotvec2dILm256EEEvPdS2_S2_S2_S2_S2_S2_S2_S2_S2_S2_S2_S2_S2_S2_S2_S2_Plddl,@function
_ZN8rajaperf4apps11deldotvec2dILm256EEEvPdS2_S2_S2_S2_S2_S2_S2_S2_S2_S2_S2_S2_S2_S2_S2_S2_Plddl: ; @_ZN8rajaperf4apps11deldotvec2dILm256EEEvPdS2_S2_S2_S2_S2_S2_S2_S2_S2_S2_S2_S2_S2_S2_S2_S2_Plddl
; %bb.0:
	s_load_b64 s[2:3], s[0:1], 0xa0
	s_bfe_u32 s4, ttmp6, 0x4000c
	s_and_b32 s5, ttmp6, 15
	s_add_co_i32 s4, s4, 1
	s_getreg_b32 s6, hwreg(HW_REG_IB_STS2, 6, 4)
	s_mul_i32 s4, ttmp9, s4
	s_delay_alu instid0(SALU_CYCLE_1) | instskip(SKIP_3) | instid1(SALU_CYCLE_1)
	s_add_co_i32 s4, s5, s4
	s_cmp_eq_u32 s6, 0
	s_mov_b32 s5, 0
	s_cselect_b32 s4, ttmp9, s4
	s_lshl_b64 s[4:5], s[4:5], 8
	s_delay_alu instid0(SALU_CYCLE_1) | instskip(SKIP_1) | instid1(VALU_DEP_1)
	v_dual_mov_b32 v1, s5 :: v_dual_bitop2_b32 v0, s4, v0 bitop3:0x54
	s_wait_kmcnt 0x0
	v_cmp_gt_i64_e32 vcc_lo, s[2:3], v[0:1]
	s_and_saveexec_b32 s2, vcc_lo
	s_cbranch_execz .LBB0_2
; %bb.1:
	s_clause 0x1
	s_load_b256 s[24:31], s[0:1], 0x80
	s_load_b512 s[4:19], s[0:1], 0x0
	s_wait_kmcnt 0x0
	v_lshl_add_u64 v[0:1], v[0:1], 3, s[26:27]
	global_load_b64 v[0:1], v[0:1], off
	s_wait_loadcnt 0x0
	v_lshlrev_b64_e32 v[0:1], 3, v[0:1]
	s_delay_alu instid0(VALU_DEP_1)
	v_add_nc_u64_e32 v[2:3], s[8:9], v[0:1]
	v_add_nc_u64_e32 v[4:5], s[10:11], v[0:1]
	;; [unrolled: 1-line block ×4, first 2 shown]
	global_load_b64 v[10:11], v[2:3], off
	global_load_b64 v[12:13], v[4:5], off
	;; [unrolled: 1-line block ×4, first 2 shown]
	s_wait_xcnt 0x3
	v_add_nc_u64_e32 v[2:3], s[6:7], v[0:1]
	s_wait_xcnt 0x2
	v_add_nc_u64_e32 v[4:5], s[18:19], v[0:1]
	;; [unrolled: 2-line block ×3, first 2 shown]
	s_load_b512 s[8:23], s[0:1], 0x40
	global_load_b64 v[8:9], v[2:3], off
	global_load_b64 v[18:19], v[4:5], off
	;; [unrolled: 1-line block ×3, first 2 shown]
	s_wait_kmcnt 0x0
	v_add_nc_u64_e32 v[2:3], s[8:9], v[0:1]
	s_wait_xcnt 0x1
	v_add_nc_u64_e32 v[4:5], s[18:19], v[0:1]
	s_wait_xcnt 0x0
	v_add_nc_u64_e32 v[6:7], s[20:21], v[0:1]
	v_add_nc_u64_e32 v[32:33], s[12:13], v[0:1]
	;; [unrolled: 1-line block ×3, first 2 shown]
	global_load_b64 v[2:3], v[2:3], off
	global_load_b64 v[22:23], v[4:5], off
	;; [unrolled: 1-line block ×3, first 2 shown]
	s_wait_xcnt 0x1
	v_add_nc_u64_e32 v[4:5], s[22:23], v[0:1]
	s_wait_xcnt 0x0
	v_add_nc_u64_e32 v[6:7], s[24:25], v[0:1]
	global_load_b64 v[4:5], v[4:5], off
	global_load_b64 v[6:7], v[6:7], off
	;; [unrolled: 1-line block ×4, first 2 shown]
	s_wait_loadcnt 0xc
	v_add_f64_e32 v[26:27], v[10:11], v[12:13]
	s_wait_loadcnt 0xa
	v_add_f64_e32 v[28:29], v[14:15], v[16:17]
	;; [unrolled: 2-line block ×4, first 2 shown]
	s_wait_loadcnt 0x7
	s_delay_alu instid0(VALU_DEP_4) | instskip(NEXT) | instid1(VALU_DEP_4)
	v_add_f64_e64 v[26:27], v[26:27], -v[20:21]
	v_add_f64_e64 v[30:31], v[28:29], -v[18:19]
	v_add_f64_e32 v[18:19], v[28:29], v[18:19]
	v_add_f64_e64 v[10:11], v[10:11], -v[12:13]
	s_wait_loadcnt 0x6
	v_add_f64_e64 v[12:13], v[16:17], -v[2:3]
	s_wait_loadcnt 0x0
	v_add_f64_e32 v[46:47], v[36:37], v[38:39]
	v_add_f64_e64 v[8:9], v[26:27], -v[8:9]
	v_add_nc_u64_e32 v[26:27], s[10:11], v[0:1]
	v_add_f64_e64 v[16:17], v[30:31], -v[2:3]
	v_add_nc_u64_e32 v[30:31], s[16:17], v[0:1]
	v_add_f64_e32 v[2:3], v[18:19], v[2:3]
	v_add_nc_u64_e32 v[0:1], s[4:5], v[0:1]
	global_load_b64 v[32:33], v[26:27], off
	global_load_b64 v[34:35], v[30:31], off
	v_add_f64_e64 v[10:11], v[10:11], -v[20:21]
	v_add_f64_e64 v[12:13], v[12:13], -v[14:15]
	v_add_f64_e32 v[20:21], v[22:23], v[24:25]
	v_add_f64_e32 v[24:25], v[24:25], v[4:5]
	v_mul_f64_e32 v[8:9], s[28:29], v[8:9]
	v_mul_f64_e32 v[14:15], s[28:29], v[16:17]
	;; [unrolled: 1-line block ×4, first 2 shown]
	s_wait_xcnt 0x1
	v_add_f64_e32 v[26:27], v[20:21], v[4:5]
	v_add_f64_e64 v[4:5], v[20:21], -v[4:5]
	v_add_f64_e64 v[24:25], v[24:25], -v[6:7]
	v_mul_f64_e32 v[16:17], v[8:9], v[14:15]
	s_delay_alu instid0(VALU_DEP_4) | instskip(NEXT) | instid1(VALU_DEP_4)
	v_add_f64_e32 v[26:27], v[26:27], v[6:7]
	v_add_f64_e64 v[4:5], v[4:5], -v[6:7]
	s_delay_alu instid0(VALU_DEP_4) | instskip(NEXT) | instid1(VALU_DEP_4)
	v_add_f64_e64 v[22:23], v[24:25], -v[22:23]
	v_fma_f64 v[16:17], v[10:11], v[12:13], -v[16:17]
	s_wait_xcnt 0x0
	s_delay_alu instid0(VALU_DEP_4)
	v_div_scale_f64 v[30:31], null, v[2:3], v[2:3], v[26:27]
	v_div_scale_f64 v[24:25], s0, v[26:27], v[2:3], v[26:27]
	v_mul_f64_e32 v[4:5], s[28:29], v[4:5]
	v_mul_f64_e32 v[22:23], s[28:29], v[22:23]
	v_add_f64_e32 v[16:17], s[30:31], v[16:17]
	v_rcp_f64_e32 v[42:43], v[30:31]
	s_delay_alu instid0(VALU_DEP_3) | instskip(NEXT) | instid1(VALU_DEP_2)
	v_mul_f64_e32 v[4:5], v[8:9], v[4:5]
	v_div_scale_f64 v[28:29], null, v[16:17], v[16:17], 1.0
	s_delay_alu instid0(VALU_DEP_2) | instskip(NEXT) | instid1(VALU_DEP_2)
	v_fma_f64 v[4:5], v[10:11], v[22:23], -v[4:5]
	v_rcp_f64_e32 v[18:19], v[28:29]
	v_nop
	s_delay_alu instid0(TRANS32_DEP_1) | instskip(NEXT) | instid1(VALU_DEP_1)
	v_fma_f64 v[40:41], -v[28:29], v[18:19], 1.0
	v_fmac_f64_e32 v[18:19], v[18:19], v[40:41]
	s_delay_alu instid0(TRANS32_DEP_2) | instskip(NEXT) | instid1(VALU_DEP_2)
	v_fma_f64 v[40:41], -v[30:31], v[42:43], 1.0
	v_fma_f64 v[44:45], -v[28:29], v[18:19], 1.0
	s_delay_alu instid0(VALU_DEP_2) | instskip(SKIP_3) | instid1(VALU_DEP_4)
	v_fmac_f64_e32 v[42:43], v[42:43], v[40:41]
	v_div_scale_f64 v[40:41], vcc_lo, 1.0, v[16:17], 1.0
	s_wait_loadcnt 0x1
	v_add_f64_e32 v[20:21], v[32:33], v[36:37]
	v_fmac_f64_e32 v[18:19], v[18:19], v[44:45]
	s_wait_loadcnt 0x0
	v_add_f64_e64 v[36:37], v[46:47], -v[34:35]
	v_fma_f64 v[44:45], -v[30:31], v[42:43], 1.0
	s_delay_alu instid0(VALU_DEP_4) | instskip(NEXT) | instid1(VALU_DEP_4)
	v_add_f64_e64 v[6:7], v[20:21], -v[38:39]
	v_mul_f64_e32 v[46:47], v[40:41], v[18:19]
	s_delay_alu instid0(VALU_DEP_4) | instskip(NEXT) | instid1(VALU_DEP_4)
	v_add_f64_e64 v[20:21], v[36:37], -v[32:33]
	v_fmac_f64_e32 v[42:43], v[42:43], v[44:45]
	s_delay_alu instid0(VALU_DEP_4) | instskip(NEXT) | instid1(VALU_DEP_4)
	v_add_f64_e64 v[6:7], v[6:7], -v[34:35]
	v_fma_f64 v[28:29], -v[28:29], v[46:47], v[40:41]
	s_delay_alu instid0(VALU_DEP_4) | instskip(NEXT) | instid1(VALU_DEP_4)
	v_mul_f64_e32 v[20:21], s[28:29], v[20:21]
	v_mul_f64_e32 v[32:33], v[24:25], v[42:43]
	s_delay_alu instid0(VALU_DEP_4) | instskip(NEXT) | instid1(VALU_DEP_4)
	v_mul_f64_e32 v[6:7], s[28:29], v[6:7]
	v_div_fmas_f64 v[18:19], v[28:29], v[18:19], v[46:47]
	s_delay_alu instid0(VALU_DEP_4) | instskip(NEXT) | instid1(VALU_DEP_4)
	v_mul_f64_e32 v[8:9], v[14:15], v[20:21]
	v_fma_f64 v[14:15], -v[30:31], v[32:33], v[24:25]
	s_mov_b32 vcc_lo, s0
	s_delay_alu instid0(VALU_DEP_3) | instskip(NEXT) | instid1(VALU_DEP_3)
	v_div_fixup_f64 v[16:17], v[18:19], v[16:17], 1.0
	v_fma_f64 v[6:7], v[12:13], v[6:7], -v[8:9]
	s_delay_alu instid0(VALU_DEP_3) | instskip(NEXT) | instid1(VALU_DEP_3)
	v_div_fmas_f64 v[8:9], v[14:15], v[42:43], v[32:33]
	v_mul_f64_e32 v[4:5], v[16:17], v[4:5]
	s_delay_alu instid0(VALU_DEP_2) | instskip(NEXT) | instid1(VALU_DEP_2)
	v_div_fixup_f64 v[2:3], v[8:9], v[2:3], v[26:27]
	v_fmac_f64_e32 v[4:5], v[16:17], v[6:7]
	s_delay_alu instid0(VALU_DEP_1)
	v_add_f64_e32 v[2:3], v[2:3], v[4:5]
	global_store_b64 v[0:1], v[2:3], off
.LBB0_2:
	s_endpgm
	.section	.rodata,"a",@progbits
	.p2align	6, 0x0
	.amdhsa_kernel _ZN8rajaperf4apps11deldotvec2dILm256EEEvPdS2_S2_S2_S2_S2_S2_S2_S2_S2_S2_S2_S2_S2_S2_S2_S2_Plddl
		.amdhsa_group_segment_fixed_size 0
		.amdhsa_private_segment_fixed_size 0
		.amdhsa_kernarg_size 168
		.amdhsa_user_sgpr_count 2
		.amdhsa_user_sgpr_dispatch_ptr 0
		.amdhsa_user_sgpr_queue_ptr 0
		.amdhsa_user_sgpr_kernarg_segment_ptr 1
		.amdhsa_user_sgpr_dispatch_id 0
		.amdhsa_user_sgpr_kernarg_preload_length 0
		.amdhsa_user_sgpr_kernarg_preload_offset 0
		.amdhsa_user_sgpr_private_segment_size 0
		.amdhsa_wavefront_size32 1
		.amdhsa_uses_dynamic_stack 0
		.amdhsa_enable_private_segment 0
		.amdhsa_system_sgpr_workgroup_id_x 1
		.amdhsa_system_sgpr_workgroup_id_y 0
		.amdhsa_system_sgpr_workgroup_id_z 0
		.amdhsa_system_sgpr_workgroup_info 0
		.amdhsa_system_vgpr_workitem_id 0
		.amdhsa_next_free_vgpr 48
		.amdhsa_next_free_sgpr 32
		.amdhsa_named_barrier_count 0
		.amdhsa_reserve_vcc 1
		.amdhsa_float_round_mode_32 0
		.amdhsa_float_round_mode_16_64 0
		.amdhsa_float_denorm_mode_32 3
		.amdhsa_float_denorm_mode_16_64 3
		.amdhsa_fp16_overflow 0
		.amdhsa_memory_ordered 1
		.amdhsa_forward_progress 1
		.amdhsa_inst_pref_size 8
		.amdhsa_round_robin_scheduling 0
		.amdhsa_exception_fp_ieee_invalid_op 0
		.amdhsa_exception_fp_denorm_src 0
		.amdhsa_exception_fp_ieee_div_zero 0
		.amdhsa_exception_fp_ieee_overflow 0
		.amdhsa_exception_fp_ieee_underflow 0
		.amdhsa_exception_fp_ieee_inexact 0
		.amdhsa_exception_int_div_zero 0
	.end_amdhsa_kernel
	.section	.text._ZN8rajaperf4apps11deldotvec2dILm256EEEvPdS2_S2_S2_S2_S2_S2_S2_S2_S2_S2_S2_S2_S2_S2_S2_S2_Plddl,"axG",@progbits,_ZN8rajaperf4apps11deldotvec2dILm256EEEvPdS2_S2_S2_S2_S2_S2_S2_S2_S2_S2_S2_S2_S2_S2_S2_S2_Plddl,comdat
.Lfunc_end0:
	.size	_ZN8rajaperf4apps11deldotvec2dILm256EEEvPdS2_S2_S2_S2_S2_S2_S2_S2_S2_S2_S2_S2_S2_S2_S2_S2_Plddl, .Lfunc_end0-_ZN8rajaperf4apps11deldotvec2dILm256EEEvPdS2_S2_S2_S2_S2_S2_S2_S2_S2_S2_S2_S2_S2_S2_S2_S2_Plddl
                                        ; -- End function
	.set _ZN8rajaperf4apps11deldotvec2dILm256EEEvPdS2_S2_S2_S2_S2_S2_S2_S2_S2_S2_S2_S2_S2_S2_S2_S2_Plddl.num_vgpr, 48
	.set _ZN8rajaperf4apps11deldotvec2dILm256EEEvPdS2_S2_S2_S2_S2_S2_S2_S2_S2_S2_S2_S2_S2_S2_S2_S2_Plddl.num_agpr, 0
	.set _ZN8rajaperf4apps11deldotvec2dILm256EEEvPdS2_S2_S2_S2_S2_S2_S2_S2_S2_S2_S2_S2_S2_S2_S2_S2_Plddl.numbered_sgpr, 32
	.set _ZN8rajaperf4apps11deldotvec2dILm256EEEvPdS2_S2_S2_S2_S2_S2_S2_S2_S2_S2_S2_S2_S2_S2_S2_S2_Plddl.num_named_barrier, 0
	.set _ZN8rajaperf4apps11deldotvec2dILm256EEEvPdS2_S2_S2_S2_S2_S2_S2_S2_S2_S2_S2_S2_S2_S2_S2_S2_Plddl.private_seg_size, 0
	.set _ZN8rajaperf4apps11deldotvec2dILm256EEEvPdS2_S2_S2_S2_S2_S2_S2_S2_S2_S2_S2_S2_S2_S2_S2_S2_Plddl.uses_vcc, 1
	.set _ZN8rajaperf4apps11deldotvec2dILm256EEEvPdS2_S2_S2_S2_S2_S2_S2_S2_S2_S2_S2_S2_S2_S2_S2_S2_Plddl.uses_flat_scratch, 0
	.set _ZN8rajaperf4apps11deldotvec2dILm256EEEvPdS2_S2_S2_S2_S2_S2_S2_S2_S2_S2_S2_S2_S2_S2_S2_S2_Plddl.has_dyn_sized_stack, 0
	.set _ZN8rajaperf4apps11deldotvec2dILm256EEEvPdS2_S2_S2_S2_S2_S2_S2_S2_S2_S2_S2_S2_S2_S2_S2_S2_Plddl.has_recursion, 0
	.set _ZN8rajaperf4apps11deldotvec2dILm256EEEvPdS2_S2_S2_S2_S2_S2_S2_S2_S2_S2_S2_S2_S2_S2_S2_S2_Plddl.has_indirect_call, 0
	.section	.AMDGPU.csdata,"",@progbits
; Kernel info:
; codeLenInByte = 992
; TotalNumSgprs: 34
; NumVgprs: 48
; ScratchSize: 0
; MemoryBound: 0
; FloatMode: 240
; IeeeMode: 1
; LDSByteSize: 0 bytes/workgroup (compile time only)
; SGPRBlocks: 0
; VGPRBlocks: 2
; NumSGPRsForWavesPerEU: 34
; NumVGPRsForWavesPerEU: 48
; NamedBarCnt: 0
; Occupancy: 16
; WaveLimiterHint : 1
; COMPUTE_PGM_RSRC2:SCRATCH_EN: 0
; COMPUTE_PGM_RSRC2:USER_SGPR: 2
; COMPUTE_PGM_RSRC2:TRAP_HANDLER: 0
; COMPUTE_PGM_RSRC2:TGID_X_EN: 1
; COMPUTE_PGM_RSRC2:TGID_Y_EN: 0
; COMPUTE_PGM_RSRC2:TGID_Z_EN: 0
; COMPUTE_PGM_RSRC2:TIDIG_COMP_CNT: 0
	.section	.text._ZN8rajaperf17lambda_hip_forallILm256EZNS_4apps14DEL_DOT_VEC_2D17runHipVariantImplILm256EEEvNS_9VariantIDEEUllE_EEvllT0_,"axG",@progbits,_ZN8rajaperf17lambda_hip_forallILm256EZNS_4apps14DEL_DOT_VEC_2D17runHipVariantImplILm256EEEvNS_9VariantIDEEUllE_EEvllT0_,comdat
	.protected	_ZN8rajaperf17lambda_hip_forallILm256EZNS_4apps14DEL_DOT_VEC_2D17runHipVariantImplILm256EEEvNS_9VariantIDEEUllE_EEvllT0_ ; -- Begin function _ZN8rajaperf17lambda_hip_forallILm256EZNS_4apps14DEL_DOT_VEC_2D17runHipVariantImplILm256EEEvNS_9VariantIDEEUllE_EEvllT0_
	.globl	_ZN8rajaperf17lambda_hip_forallILm256EZNS_4apps14DEL_DOT_VEC_2D17runHipVariantImplILm256EEEvNS_9VariantIDEEUllE_EEvllT0_
	.p2align	8
	.type	_ZN8rajaperf17lambda_hip_forallILm256EZNS_4apps14DEL_DOT_VEC_2D17runHipVariantImplILm256EEEvNS_9VariantIDEEUllE_EEvllT0_,@function
_ZN8rajaperf17lambda_hip_forallILm256EZNS_4apps14DEL_DOT_VEC_2D17runHipVariantImplILm256EEEvNS_9VariantIDEEUllE_EEvllT0_: ; @_ZN8rajaperf17lambda_hip_forallILm256EZNS_4apps14DEL_DOT_VEC_2D17runHipVariantImplILm256EEEvNS_9VariantIDEEUllE_EEvllT0_
; %bb.0:
	s_load_b128 s[4:7], s[0:1], 0x0
	s_bfe_u32 s2, ttmp6, 0x4000c
	s_and_b32 s3, ttmp6, 15
	s_add_co_i32 s2, s2, 1
	s_getreg_b32 s8, hwreg(HW_REG_IB_STS2, 6, 4)
	s_mul_i32 s2, ttmp9, s2
	v_mov_b32_e32 v1, 0
	s_add_co_i32 s2, s3, s2
	s_cmp_eq_u32 s8, 0
	s_mov_b32 s3, 0
	s_cselect_b32 s2, ttmp9, s2
	s_delay_alu instid0(SALU_CYCLE_1) | instskip(SKIP_2) | instid1(SALU_CYCLE_1)
	s_lshl_b64 s[2:3], s[2:3], 8
	s_wait_kmcnt 0x0
	s_add_nc_u64 s[2:3], s[4:5], s[2:3]
	v_add_nc_u64_e32 v[0:1], s[2:3], v[0:1]
	s_mov_b32 s2, exec_lo
	s_delay_alu instid0(VALU_DEP_1)
	v_cmpx_gt_i64_e64 s[6:7], v[0:1]
	s_cbranch_execz .LBB1_2
; %bb.1:
	s_load_b512 s[4:19], s[0:1], 0x10
	s_wait_kmcnt 0x0
	v_lshl_add_u64 v[0:1], v[0:1], 3, s[4:5]
	global_load_b64 v[0:1], v[0:1], off
	s_wait_loadcnt 0x0
	v_lshlrev_b64_e32 v[0:1], 3, v[0:1]
	s_delay_alu instid0(VALU_DEP_1)
	v_add_nc_u64_e32 v[2:3], s[10:11], v[0:1]
	v_add_nc_u64_e32 v[4:5], s[12:13], v[0:1]
	;; [unrolled: 1-line block ×4, first 2 shown]
	s_load_b512 s[16:31], s[0:1], 0x50
	global_load_b64 v[10:11], v[2:3], off
	global_load_b64 v[12:13], v[4:5], off
	;; [unrolled: 1-line block ×4, first 2 shown]
	s_wait_xcnt 0x3
	v_add_nc_u64_e32 v[2:3], s[8:9], v[0:1]
	s_wait_xcnt 0x1
	v_add_nc_u64_e32 v[6:7], s[14:15], v[0:1]
	s_load_b256 s[8:15], s[0:1], 0x90
	s_wait_kmcnt 0x0
	v_add_nc_u64_e32 v[4:5], s[16:17], v[0:1]
	v_add_nc_u64_e32 v[32:33], s[22:23], v[0:1]
	global_load_b64 v[8:9], v[2:3], off
	global_load_b64 v[18:19], v[4:5], off
	;; [unrolled: 1-line block ×3, first 2 shown]
	s_wait_xcnt 0x2
	v_add_nc_u64_e32 v[2:3], s[18:19], v[0:1]
	s_wait_xcnt 0x1
	v_add_nc_u64_e32 v[4:5], s[28:29], v[0:1]
	;; [unrolled: 2-line block ×3, first 2 shown]
	v_add_nc_u64_e32 v[34:35], s[24:25], v[0:1]
	global_load_b64 v[2:3], v[2:3], off
	global_load_b64 v[22:23], v[4:5], off
	;; [unrolled: 1-line block ×3, first 2 shown]
	s_wait_xcnt 0x1
	v_add_nc_u64_e32 v[4:5], s[8:9], v[0:1]
	s_wait_xcnt 0x0
	v_add_nc_u64_e32 v[6:7], s[10:11], v[0:1]
	global_load_b64 v[4:5], v[4:5], off
	global_load_b64 v[6:7], v[6:7], off
	;; [unrolled: 1-line block ×4, first 2 shown]
	s_wait_loadcnt 0xc
	v_add_f64_e32 v[26:27], v[10:11], v[12:13]
	s_wait_loadcnt 0xa
	v_add_f64_e32 v[28:29], v[14:15], v[16:17]
	;; [unrolled: 2-line block ×4, first 2 shown]
	s_wait_loadcnt 0x7
	s_delay_alu instid0(VALU_DEP_4) | instskip(NEXT) | instid1(VALU_DEP_4)
	v_add_f64_e64 v[26:27], v[26:27], -v[20:21]
	v_add_f64_e64 v[30:31], v[28:29], -v[18:19]
	v_add_f64_e32 v[18:19], v[28:29], v[18:19]
	s_wait_loadcnt 0x0
	v_add_f64_e32 v[46:47], v[36:37], v[38:39]
	v_add_f64_e64 v[10:11], v[10:11], -v[12:13]
	v_add_f64_e64 v[12:13], v[16:17], -v[2:3]
	;; [unrolled: 1-line block ×3, first 2 shown]
	v_add_nc_u64_e32 v[26:27], s[20:21], v[0:1]
	v_add_f64_e64 v[16:17], v[30:31], -v[2:3]
	v_add_nc_u64_e32 v[30:31], s[26:27], v[0:1]
	v_add_f64_e32 v[2:3], v[18:19], v[2:3]
	v_add_nc_u64_e32 v[0:1], s[14:15], v[0:1]
	global_load_b64 v[32:33], v[26:27], off
	global_load_b64 v[34:35], v[30:31], off
	v_add_f64_e64 v[10:11], v[10:11], -v[20:21]
	v_add_f64_e64 v[12:13], v[12:13], -v[14:15]
	v_add_f64_e32 v[20:21], v[22:23], v[24:25]
	v_add_f64_e32 v[24:25], v[24:25], v[4:5]
	v_mul_f64_e32 v[8:9], s[6:7], v[8:9]
	v_mul_f64_e32 v[14:15], s[6:7], v[16:17]
	;; [unrolled: 1-line block ×4, first 2 shown]
	s_wait_xcnt 0x1
	v_add_f64_e32 v[26:27], v[20:21], v[4:5]
	v_add_f64_e64 v[4:5], v[20:21], -v[4:5]
	v_add_f64_e64 v[24:25], v[24:25], -v[6:7]
	v_mul_f64_e32 v[16:17], v[8:9], v[14:15]
	s_delay_alu instid0(VALU_DEP_4) | instskip(NEXT) | instid1(VALU_DEP_4)
	v_add_f64_e32 v[26:27], v[26:27], v[6:7]
	v_add_f64_e64 v[4:5], v[4:5], -v[6:7]
	s_delay_alu instid0(VALU_DEP_4) | instskip(NEXT) | instid1(VALU_DEP_4)
	v_add_f64_e64 v[22:23], v[24:25], -v[22:23]
	v_fma_f64 v[16:17], v[10:11], v[12:13], -v[16:17]
	s_wait_xcnt 0x0
	s_delay_alu instid0(VALU_DEP_4)
	v_div_scale_f64 v[30:31], null, v[2:3], v[2:3], v[26:27]
	v_div_scale_f64 v[24:25], s0, v[26:27], v[2:3], v[26:27]
	v_mul_f64_e32 v[4:5], s[6:7], v[4:5]
	v_mul_f64_e32 v[22:23], s[6:7], v[22:23]
	v_add_f64_e32 v[16:17], s[12:13], v[16:17]
	v_rcp_f64_e32 v[42:43], v[30:31]
	s_delay_alu instid0(VALU_DEP_3) | instskip(NEXT) | instid1(VALU_DEP_2)
	v_mul_f64_e32 v[4:5], v[8:9], v[4:5]
	v_div_scale_f64 v[28:29], null, v[16:17], v[16:17], 1.0
	s_delay_alu instid0(VALU_DEP_2) | instskip(NEXT) | instid1(VALU_DEP_2)
	v_fma_f64 v[4:5], v[10:11], v[22:23], -v[4:5]
	v_rcp_f64_e32 v[18:19], v[28:29]
	v_nop
	s_delay_alu instid0(TRANS32_DEP_1) | instskip(NEXT) | instid1(VALU_DEP_1)
	v_fma_f64 v[40:41], -v[28:29], v[18:19], 1.0
	v_fmac_f64_e32 v[18:19], v[18:19], v[40:41]
	s_delay_alu instid0(TRANS32_DEP_2) | instskip(NEXT) | instid1(VALU_DEP_2)
	v_fma_f64 v[40:41], -v[30:31], v[42:43], 1.0
	v_fma_f64 v[44:45], -v[28:29], v[18:19], 1.0
	s_delay_alu instid0(VALU_DEP_2) | instskip(SKIP_3) | instid1(VALU_DEP_4)
	v_fmac_f64_e32 v[42:43], v[42:43], v[40:41]
	v_div_scale_f64 v[40:41], vcc_lo, 1.0, v[16:17], 1.0
	s_wait_loadcnt 0x1
	v_add_f64_e32 v[20:21], v[32:33], v[36:37]
	v_fmac_f64_e32 v[18:19], v[18:19], v[44:45]
	s_wait_loadcnt 0x0
	v_add_f64_e64 v[36:37], v[46:47], -v[34:35]
	v_fma_f64 v[44:45], -v[30:31], v[42:43], 1.0
	s_delay_alu instid0(VALU_DEP_4) | instskip(NEXT) | instid1(VALU_DEP_4)
	v_add_f64_e64 v[6:7], v[20:21], -v[38:39]
	v_mul_f64_e32 v[46:47], v[40:41], v[18:19]
	s_delay_alu instid0(VALU_DEP_4) | instskip(NEXT) | instid1(VALU_DEP_4)
	v_add_f64_e64 v[20:21], v[36:37], -v[32:33]
	v_fmac_f64_e32 v[42:43], v[42:43], v[44:45]
	s_delay_alu instid0(VALU_DEP_4) | instskip(NEXT) | instid1(VALU_DEP_4)
	v_add_f64_e64 v[6:7], v[6:7], -v[34:35]
	v_fma_f64 v[28:29], -v[28:29], v[46:47], v[40:41]
	s_delay_alu instid0(VALU_DEP_4) | instskip(NEXT) | instid1(VALU_DEP_4)
	v_mul_f64_e32 v[20:21], s[6:7], v[20:21]
	v_mul_f64_e32 v[32:33], v[24:25], v[42:43]
	s_delay_alu instid0(VALU_DEP_4) | instskip(NEXT) | instid1(VALU_DEP_4)
	v_mul_f64_e32 v[6:7], s[6:7], v[6:7]
	v_div_fmas_f64 v[18:19], v[28:29], v[18:19], v[46:47]
	s_delay_alu instid0(VALU_DEP_4) | instskip(NEXT) | instid1(VALU_DEP_4)
	v_mul_f64_e32 v[8:9], v[14:15], v[20:21]
	v_fma_f64 v[14:15], -v[30:31], v[32:33], v[24:25]
	s_mov_b32 vcc_lo, s0
	s_delay_alu instid0(VALU_DEP_3) | instskip(NEXT) | instid1(VALU_DEP_3)
	v_div_fixup_f64 v[16:17], v[18:19], v[16:17], 1.0
	v_fma_f64 v[6:7], v[12:13], v[6:7], -v[8:9]
	s_delay_alu instid0(VALU_DEP_3) | instskip(NEXT) | instid1(VALU_DEP_3)
	v_div_fmas_f64 v[8:9], v[14:15], v[42:43], v[32:33]
	v_mul_f64_e32 v[4:5], v[16:17], v[4:5]
	s_delay_alu instid0(VALU_DEP_2) | instskip(NEXT) | instid1(VALU_DEP_2)
	v_div_fixup_f64 v[2:3], v[8:9], v[2:3], v[26:27]
	v_fmac_f64_e32 v[4:5], v[16:17], v[6:7]
	s_delay_alu instid0(VALU_DEP_1)
	v_add_f64_e32 v[2:3], v[2:3], v[4:5]
	global_store_b64 v[0:1], v[2:3], off
.LBB1_2:
	s_endpgm
	.section	.rodata,"a",@progbits
	.p2align	6, 0x0
	.amdhsa_kernel _ZN8rajaperf17lambda_hip_forallILm256EZNS_4apps14DEL_DOT_VEC_2D17runHipVariantImplILm256EEEvNS_9VariantIDEEUllE_EEvllT0_
		.amdhsa_group_segment_fixed_size 0
		.amdhsa_private_segment_fixed_size 0
		.amdhsa_kernarg_size 176
		.amdhsa_user_sgpr_count 2
		.amdhsa_user_sgpr_dispatch_ptr 0
		.amdhsa_user_sgpr_queue_ptr 0
		.amdhsa_user_sgpr_kernarg_segment_ptr 1
		.amdhsa_user_sgpr_dispatch_id 0
		.amdhsa_user_sgpr_kernarg_preload_length 0
		.amdhsa_user_sgpr_kernarg_preload_offset 0
		.amdhsa_user_sgpr_private_segment_size 0
		.amdhsa_wavefront_size32 1
		.amdhsa_uses_dynamic_stack 0
		.amdhsa_enable_private_segment 0
		.amdhsa_system_sgpr_workgroup_id_x 1
		.amdhsa_system_sgpr_workgroup_id_y 0
		.amdhsa_system_sgpr_workgroup_id_z 0
		.amdhsa_system_sgpr_workgroup_info 0
		.amdhsa_system_vgpr_workitem_id 0
		.amdhsa_next_free_vgpr 48
		.amdhsa_next_free_sgpr 32
		.amdhsa_named_barrier_count 0
		.amdhsa_reserve_vcc 1
		.amdhsa_float_round_mode_32 0
		.amdhsa_float_round_mode_16_64 0
		.amdhsa_float_denorm_mode_32 3
		.amdhsa_float_denorm_mode_16_64 3
		.amdhsa_fp16_overflow 0
		.amdhsa_memory_ordered 1
		.amdhsa_forward_progress 1
		.amdhsa_inst_pref_size 8
		.amdhsa_round_robin_scheduling 0
		.amdhsa_exception_fp_ieee_invalid_op 0
		.amdhsa_exception_fp_denorm_src 0
		.amdhsa_exception_fp_ieee_div_zero 0
		.amdhsa_exception_fp_ieee_overflow 0
		.amdhsa_exception_fp_ieee_underflow 0
		.amdhsa_exception_fp_ieee_inexact 0
		.amdhsa_exception_int_div_zero 0
	.end_amdhsa_kernel
	.section	.text._ZN8rajaperf17lambda_hip_forallILm256EZNS_4apps14DEL_DOT_VEC_2D17runHipVariantImplILm256EEEvNS_9VariantIDEEUllE_EEvllT0_,"axG",@progbits,_ZN8rajaperf17lambda_hip_forallILm256EZNS_4apps14DEL_DOT_VEC_2D17runHipVariantImplILm256EEEvNS_9VariantIDEEUllE_EEvllT0_,comdat
.Lfunc_end1:
	.size	_ZN8rajaperf17lambda_hip_forallILm256EZNS_4apps14DEL_DOT_VEC_2D17runHipVariantImplILm256EEEvNS_9VariantIDEEUllE_EEvllT0_, .Lfunc_end1-_ZN8rajaperf17lambda_hip_forallILm256EZNS_4apps14DEL_DOT_VEC_2D17runHipVariantImplILm256EEEvNS_9VariantIDEEUllE_EEvllT0_
                                        ; -- End function
	.set _ZN8rajaperf17lambda_hip_forallILm256EZNS_4apps14DEL_DOT_VEC_2D17runHipVariantImplILm256EEEvNS_9VariantIDEEUllE_EEvllT0_.num_vgpr, 48
	.set _ZN8rajaperf17lambda_hip_forallILm256EZNS_4apps14DEL_DOT_VEC_2D17runHipVariantImplILm256EEEvNS_9VariantIDEEUllE_EEvllT0_.num_agpr, 0
	.set _ZN8rajaperf17lambda_hip_forallILm256EZNS_4apps14DEL_DOT_VEC_2D17runHipVariantImplILm256EEEvNS_9VariantIDEEUllE_EEvllT0_.numbered_sgpr, 32
	.set _ZN8rajaperf17lambda_hip_forallILm256EZNS_4apps14DEL_DOT_VEC_2D17runHipVariantImplILm256EEEvNS_9VariantIDEEUllE_EEvllT0_.num_named_barrier, 0
	.set _ZN8rajaperf17lambda_hip_forallILm256EZNS_4apps14DEL_DOT_VEC_2D17runHipVariantImplILm256EEEvNS_9VariantIDEEUllE_EEvllT0_.private_seg_size, 0
	.set _ZN8rajaperf17lambda_hip_forallILm256EZNS_4apps14DEL_DOT_VEC_2D17runHipVariantImplILm256EEEvNS_9VariantIDEEUllE_EEvllT0_.uses_vcc, 1
	.set _ZN8rajaperf17lambda_hip_forallILm256EZNS_4apps14DEL_DOT_VEC_2D17runHipVariantImplILm256EEEvNS_9VariantIDEEUllE_EEvllT0_.uses_flat_scratch, 0
	.set _ZN8rajaperf17lambda_hip_forallILm256EZNS_4apps14DEL_DOT_VEC_2D17runHipVariantImplILm256EEEvNS_9VariantIDEEUllE_EEvllT0_.has_dyn_sized_stack, 0
	.set _ZN8rajaperf17lambda_hip_forallILm256EZNS_4apps14DEL_DOT_VEC_2D17runHipVariantImplILm256EEEvNS_9VariantIDEEUllE_EEvllT0_.has_recursion, 0
	.set _ZN8rajaperf17lambda_hip_forallILm256EZNS_4apps14DEL_DOT_VEC_2D17runHipVariantImplILm256EEEvNS_9VariantIDEEUllE_EEvllT0_.has_indirect_call, 0
	.section	.AMDGPU.csdata,"",@progbits
; Kernel info:
; codeLenInByte = 988
; TotalNumSgprs: 34
; NumVgprs: 48
; ScratchSize: 0
; MemoryBound: 0
; FloatMode: 240
; IeeeMode: 1
; LDSByteSize: 0 bytes/workgroup (compile time only)
; SGPRBlocks: 0
; VGPRBlocks: 2
; NumSGPRsForWavesPerEU: 34
; NumVGPRsForWavesPerEU: 48
; NamedBarCnt: 0
; Occupancy: 16
; WaveLimiterHint : 1
; COMPUTE_PGM_RSRC2:SCRATCH_EN: 0
; COMPUTE_PGM_RSRC2:USER_SGPR: 2
; COMPUTE_PGM_RSRC2:TRAP_HANDLER: 0
; COMPUTE_PGM_RSRC2:TGID_X_EN: 1
; COMPUTE_PGM_RSRC2:TGID_Y_EN: 0
; COMPUTE_PGM_RSRC2:TGID_Z_EN: 0
; COMPUTE_PGM_RSRC2:TIDIG_COMP_CNT: 0
	.section	.text._ZN4RAJA6policy3hip4impl18forallp_hip_kernelINS1_8hip_execINS_17iteration_mapping6DirectENS_3hip11IndexGlobalILNS_9named_dimE0ELi256ELi0EEENS7_40AvoidDeviceMaxThreadOccupancyConcretizerINS7_34FractionOffsetOccupancyConcretizerINS_8FractionImLm1ELm1EEELln1EEEEELb1EEEPlZN8rajaperf4apps14DEL_DOT_VEC_2D17runHipVariantImplILm256EEEvNSJ_9VariantIDEEUllE0_lNS_4expt15ForallParamPackIJEEES6_SA_TnNSt9enable_ifIXaasr3std10is_base_ofINS5_10DirectBaseET4_EE5valuegtsrT5_10block_sizeLi0EEmE4typeELm256EEEvT1_T0_T2_T3_,"axG",@progbits,_ZN4RAJA6policy3hip4impl18forallp_hip_kernelINS1_8hip_execINS_17iteration_mapping6DirectENS_3hip11IndexGlobalILNS_9named_dimE0ELi256ELi0EEENS7_40AvoidDeviceMaxThreadOccupancyConcretizerINS7_34FractionOffsetOccupancyConcretizerINS_8FractionImLm1ELm1EEELln1EEEEELb1EEEPlZN8rajaperf4apps14DEL_DOT_VEC_2D17runHipVariantImplILm256EEEvNSJ_9VariantIDEEUllE0_lNS_4expt15ForallParamPackIJEEES6_SA_TnNSt9enable_ifIXaasr3std10is_base_ofINS5_10DirectBaseET4_EE5valuegtsrT5_10block_sizeLi0EEmE4typeELm256EEEvT1_T0_T2_T3_,comdat
	.protected	_ZN4RAJA6policy3hip4impl18forallp_hip_kernelINS1_8hip_execINS_17iteration_mapping6DirectENS_3hip11IndexGlobalILNS_9named_dimE0ELi256ELi0EEENS7_40AvoidDeviceMaxThreadOccupancyConcretizerINS7_34FractionOffsetOccupancyConcretizerINS_8FractionImLm1ELm1EEELln1EEEEELb1EEEPlZN8rajaperf4apps14DEL_DOT_VEC_2D17runHipVariantImplILm256EEEvNSJ_9VariantIDEEUllE0_lNS_4expt15ForallParamPackIJEEES6_SA_TnNSt9enable_ifIXaasr3std10is_base_ofINS5_10DirectBaseET4_EE5valuegtsrT5_10block_sizeLi0EEmE4typeELm256EEEvT1_T0_T2_T3_ ; -- Begin function _ZN4RAJA6policy3hip4impl18forallp_hip_kernelINS1_8hip_execINS_17iteration_mapping6DirectENS_3hip11IndexGlobalILNS_9named_dimE0ELi256ELi0EEENS7_40AvoidDeviceMaxThreadOccupancyConcretizerINS7_34FractionOffsetOccupancyConcretizerINS_8FractionImLm1ELm1EEELln1EEEEELb1EEEPlZN8rajaperf4apps14DEL_DOT_VEC_2D17runHipVariantImplILm256EEEvNSJ_9VariantIDEEUllE0_lNS_4expt15ForallParamPackIJEEES6_SA_TnNSt9enable_ifIXaasr3std10is_base_ofINS5_10DirectBaseET4_EE5valuegtsrT5_10block_sizeLi0EEmE4typeELm256EEEvT1_T0_T2_T3_
	.globl	_ZN4RAJA6policy3hip4impl18forallp_hip_kernelINS1_8hip_execINS_17iteration_mapping6DirectENS_3hip11IndexGlobalILNS_9named_dimE0ELi256ELi0EEENS7_40AvoidDeviceMaxThreadOccupancyConcretizerINS7_34FractionOffsetOccupancyConcretizerINS_8FractionImLm1ELm1EEELln1EEEEELb1EEEPlZN8rajaperf4apps14DEL_DOT_VEC_2D17runHipVariantImplILm256EEEvNSJ_9VariantIDEEUllE0_lNS_4expt15ForallParamPackIJEEES6_SA_TnNSt9enable_ifIXaasr3std10is_base_ofINS5_10DirectBaseET4_EE5valuegtsrT5_10block_sizeLi0EEmE4typeELm256EEEvT1_T0_T2_T3_
	.p2align	8
	.type	_ZN4RAJA6policy3hip4impl18forallp_hip_kernelINS1_8hip_execINS_17iteration_mapping6DirectENS_3hip11IndexGlobalILNS_9named_dimE0ELi256ELi0EEENS7_40AvoidDeviceMaxThreadOccupancyConcretizerINS7_34FractionOffsetOccupancyConcretizerINS_8FractionImLm1ELm1EEELln1EEEEELb1EEEPlZN8rajaperf4apps14DEL_DOT_VEC_2D17runHipVariantImplILm256EEEvNSJ_9VariantIDEEUllE0_lNS_4expt15ForallParamPackIJEEES6_SA_TnNSt9enable_ifIXaasr3std10is_base_ofINS5_10DirectBaseET4_EE5valuegtsrT5_10block_sizeLi0EEmE4typeELm256EEEvT1_T0_T2_T3_,@function
_ZN4RAJA6policy3hip4impl18forallp_hip_kernelINS1_8hip_execINS_17iteration_mapping6DirectENS_3hip11IndexGlobalILNS_9named_dimE0ELi256ELi0EEENS7_40AvoidDeviceMaxThreadOccupancyConcretizerINS7_34FractionOffsetOccupancyConcretizerINS_8FractionImLm1ELm1EEELln1EEEEELb1EEEPlZN8rajaperf4apps14DEL_DOT_VEC_2D17runHipVariantImplILm256EEEvNSJ_9VariantIDEEUllE0_lNS_4expt15ForallParamPackIJEEES6_SA_TnNSt9enable_ifIXaasr3std10is_base_ofINS5_10DirectBaseET4_EE5valuegtsrT5_10block_sizeLi0EEmE4typeELm256EEEvT1_T0_T2_T3_: ; @_ZN4RAJA6policy3hip4impl18forallp_hip_kernelINS1_8hip_execINS_17iteration_mapping6DirectENS_3hip11IndexGlobalILNS_9named_dimE0ELi256ELi0EEENS7_40AvoidDeviceMaxThreadOccupancyConcretizerINS7_34FractionOffsetOccupancyConcretizerINS_8FractionImLm1ELm1EEELln1EEEEELb1EEEPlZN8rajaperf4apps14DEL_DOT_VEC_2D17runHipVariantImplILm256EEEvNSJ_9VariantIDEEUllE0_lNS_4expt15ForallParamPackIJEEES6_SA_TnNSt9enable_ifIXaasr3std10is_base_ofINS5_10DirectBaseET4_EE5valuegtsrT5_10block_sizeLi0EEmE4typeELm256EEEvT1_T0_T2_T3_
; %bb.0:
	s_load_b128 s[4:7], s[0:1], 0x98
	s_bfe_u32 s2, ttmp6, 0x4000c
	s_and_b32 s3, ttmp6, 15
	s_add_co_i32 s2, s2, 1
	s_getreg_b32 s8, hwreg(HW_REG_IB_STS2, 6, 4)
	s_mul_i32 s2, ttmp9, s2
	s_delay_alu instid0(SALU_CYCLE_1) | instskip(SKIP_3) | instid1(SALU_CYCLE_1)
	s_add_co_i32 s2, s3, s2
	s_cmp_eq_u32 s8, 0
	s_mov_b32 s3, 0
	s_cselect_b32 s2, ttmp9, s2
	s_lshl_b64 s[2:3], s[2:3], 8
	s_delay_alu instid0(SALU_CYCLE_1) | instskip(SKIP_2) | instid1(VALU_DEP_1)
	v_dual_mov_b32 v1, s3 :: v_dual_bitop2_b32 v0, s2, v0 bitop3:0x54
	s_mov_b32 s2, exec_lo
	s_wait_kmcnt 0x0
	v_cmpx_gt_i64_e64 s[6:7], v[0:1]
	s_cbranch_execz .LBB2_2
; %bb.1:
	v_lshl_add_u64 v[0:1], v[0:1], 3, s[4:5]
	s_load_b512 s[4:19], s[0:1], 0x0
	global_load_b64 v[0:1], v[0:1], off
	s_wait_loadcnt 0x0
	v_lshlrev_b64_e32 v[0:1], 3, v[0:1]
	s_wait_kmcnt 0x0
	s_delay_alu instid0(VALU_DEP_1)
	v_add_nc_u64_e32 v[2:3], s[8:9], v[0:1]
	v_add_nc_u64_e32 v[4:5], s[10:11], v[0:1]
	;; [unrolled: 1-line block ×4, first 2 shown]
	global_load_b64 v[10:11], v[2:3], off
	global_load_b64 v[12:13], v[4:5], off
	;; [unrolled: 1-line block ×4, first 2 shown]
	s_wait_xcnt 0x3
	v_add_nc_u64_e32 v[2:3], s[6:7], v[0:1]
	s_wait_xcnt 0x2
	v_add_nc_u64_e32 v[4:5], s[18:19], v[0:1]
	;; [unrolled: 2-line block ×3, first 2 shown]
	s_load_b512 s[8:23], s[0:1], 0x40
	global_load_b64 v[8:9], v[2:3], off
	global_load_b64 v[18:19], v[4:5], off
	;; [unrolled: 1-line block ×3, first 2 shown]
	s_wait_kmcnt 0x0
	v_add_nc_u64_e32 v[2:3], s[8:9], v[0:1]
	s_wait_xcnt 0x1
	v_add_nc_u64_e32 v[4:5], s[18:19], v[0:1]
	s_wait_xcnt 0x0
	v_add_nc_u64_e32 v[6:7], s[20:21], v[0:1]
	v_add_nc_u64_e32 v[32:33], s[12:13], v[0:1]
	;; [unrolled: 1-line block ×3, first 2 shown]
	global_load_b64 v[2:3], v[2:3], off
	global_load_b64 v[22:23], v[4:5], off
	;; [unrolled: 1-line block ×3, first 2 shown]
	s_wait_xcnt 0x1
	v_add_nc_u64_e32 v[4:5], s[22:23], v[0:1]
	s_load_b128 s[20:23], s[0:1], 0x80
	global_load_b64 v[4:5], v[4:5], off
	s_load_b64 s[0:1], s[0:1], 0x90
	s_wait_kmcnt 0x0
	v_add_nc_u64_e32 v[6:7], s[20:21], v[0:1]
	global_load_b64 v[6:7], v[6:7], off
	global_load_b64 v[36:37], v[32:33], off
	;; [unrolled: 1-line block ×3, first 2 shown]
	s_wait_loadcnt 0xc
	v_add_f64_e32 v[26:27], v[10:11], v[12:13]
	s_wait_loadcnt 0xa
	v_add_f64_e32 v[28:29], v[14:15], v[16:17]
	;; [unrolled: 2-line block ×4, first 2 shown]
	s_wait_loadcnt 0x7
	s_delay_alu instid0(VALU_DEP_4) | instskip(NEXT) | instid1(VALU_DEP_4)
	v_add_f64_e64 v[26:27], v[26:27], -v[20:21]
	v_add_f64_e64 v[30:31], v[28:29], -v[18:19]
	v_add_f64_e32 v[18:19], v[28:29], v[18:19]
	v_add_f64_e64 v[10:11], v[10:11], -v[12:13]
	s_wait_loadcnt 0x6
	v_add_f64_e64 v[12:13], v[16:17], -v[2:3]
	s_wait_loadcnt 0x0
	v_add_f64_e32 v[46:47], v[36:37], v[38:39]
	v_add_f64_e64 v[8:9], v[26:27], -v[8:9]
	v_add_f64_e64 v[16:17], v[30:31], -v[2:3]
	v_add_nc_u64_e32 v[26:27], s[10:11], v[0:1]
	v_add_nc_u64_e32 v[30:31], s[16:17], v[0:1]
	v_add_f64_e32 v[2:3], v[18:19], v[2:3]
	v_add_nc_u64_e32 v[0:1], s[0:1], v[0:1]
	global_load_b64 v[32:33], v[26:27], off
	global_load_b64 v[34:35], v[30:31], off
	v_add_f64_e64 v[10:11], v[10:11], -v[20:21]
	v_add_f64_e64 v[12:13], v[12:13], -v[14:15]
	v_add_f64_e32 v[20:21], v[22:23], v[24:25]
	v_add_f64_e32 v[24:25], v[24:25], v[4:5]
	v_mul_f64_e32 v[8:9], s[4:5], v[8:9]
	v_mul_f64_e32 v[14:15], s[4:5], v[16:17]
	v_mul_f64_e32 v[10:11], s[4:5], v[10:11]
	v_mul_f64_e32 v[12:13], s[4:5], v[12:13]
	s_wait_xcnt 0x1
	v_add_f64_e32 v[26:27], v[20:21], v[4:5]
	v_add_f64_e64 v[4:5], v[20:21], -v[4:5]
	v_add_f64_e64 v[24:25], v[24:25], -v[6:7]
	v_mul_f64_e32 v[16:17], v[8:9], v[14:15]
	s_delay_alu instid0(VALU_DEP_4) | instskip(NEXT) | instid1(VALU_DEP_4)
	v_add_f64_e32 v[26:27], v[26:27], v[6:7]
	v_add_f64_e64 v[4:5], v[4:5], -v[6:7]
	s_delay_alu instid0(VALU_DEP_4) | instskip(NEXT) | instid1(VALU_DEP_4)
	v_add_f64_e64 v[22:23], v[24:25], -v[22:23]
	v_fma_f64 v[16:17], v[10:11], v[12:13], -v[16:17]
	s_wait_xcnt 0x0
	s_delay_alu instid0(VALU_DEP_4)
	v_div_scale_f64 v[30:31], null, v[2:3], v[2:3], v[26:27]
	v_div_scale_f64 v[24:25], s2, v[26:27], v[2:3], v[26:27]
	v_mul_f64_e32 v[4:5], s[4:5], v[4:5]
	v_mul_f64_e32 v[22:23], s[4:5], v[22:23]
	v_add_f64_e32 v[16:17], s[22:23], v[16:17]
	v_rcp_f64_e32 v[42:43], v[30:31]
	s_delay_alu instid0(VALU_DEP_3) | instskip(NEXT) | instid1(VALU_DEP_2)
	v_mul_f64_e32 v[4:5], v[8:9], v[4:5]
	v_div_scale_f64 v[28:29], null, v[16:17], v[16:17], 1.0
	s_delay_alu instid0(VALU_DEP_2) | instskip(NEXT) | instid1(VALU_DEP_2)
	v_fma_f64 v[4:5], v[10:11], v[22:23], -v[4:5]
	v_rcp_f64_e32 v[18:19], v[28:29]
	v_nop
	s_delay_alu instid0(TRANS32_DEP_1) | instskip(NEXT) | instid1(VALU_DEP_1)
	v_fma_f64 v[40:41], -v[28:29], v[18:19], 1.0
	v_fmac_f64_e32 v[18:19], v[18:19], v[40:41]
	s_delay_alu instid0(TRANS32_DEP_2) | instskip(NEXT) | instid1(VALU_DEP_2)
	v_fma_f64 v[40:41], -v[30:31], v[42:43], 1.0
	v_fma_f64 v[44:45], -v[28:29], v[18:19], 1.0
	s_delay_alu instid0(VALU_DEP_2) | instskip(SKIP_1) | instid1(VALU_DEP_3)
	v_fmac_f64_e32 v[42:43], v[42:43], v[40:41]
	v_div_scale_f64 v[40:41], vcc_lo, 1.0, v[16:17], 1.0
	v_fmac_f64_e32 v[18:19], v[18:19], v[44:45]
	s_wait_loadcnt 0x1
	v_add_f64_e32 v[20:21], v[32:33], v[36:37]
	s_wait_loadcnt 0x0
	v_add_f64_e64 v[36:37], v[46:47], -v[34:35]
	v_fma_f64 v[44:45], -v[30:31], v[42:43], 1.0
	s_delay_alu instid0(VALU_DEP_4) | instskip(NEXT) | instid1(VALU_DEP_4)
	v_mul_f64_e32 v[46:47], v[40:41], v[18:19]
	v_add_f64_e64 v[6:7], v[20:21], -v[38:39]
	s_delay_alu instid0(VALU_DEP_4) | instskip(NEXT) | instid1(VALU_DEP_4)
	v_add_f64_e64 v[20:21], v[36:37], -v[32:33]
	v_fmac_f64_e32 v[42:43], v[42:43], v[44:45]
	s_delay_alu instid0(VALU_DEP_4) | instskip(NEXT) | instid1(VALU_DEP_4)
	v_fma_f64 v[28:29], -v[28:29], v[46:47], v[40:41]
	v_add_f64_e64 v[6:7], v[6:7], -v[34:35]
	s_delay_alu instid0(VALU_DEP_4) | instskip(NEXT) | instid1(VALU_DEP_4)
	v_mul_f64_e32 v[20:21], s[4:5], v[20:21]
	v_mul_f64_e32 v[32:33], v[24:25], v[42:43]
	s_delay_alu instid0(VALU_DEP_4) | instskip(NEXT) | instid1(VALU_DEP_4)
	v_div_fmas_f64 v[18:19], v[28:29], v[18:19], v[46:47]
	v_mul_f64_e32 v[6:7], s[4:5], v[6:7]
	s_delay_alu instid0(VALU_DEP_4) | instskip(NEXT) | instid1(VALU_DEP_4)
	v_mul_f64_e32 v[8:9], v[14:15], v[20:21]
	v_fma_f64 v[14:15], -v[30:31], v[32:33], v[24:25]
	s_mov_b32 vcc_lo, s2
	s_delay_alu instid0(VALU_DEP_4) | instskip(NEXT) | instid1(VALU_DEP_3)
	v_div_fixup_f64 v[16:17], v[18:19], v[16:17], 1.0
	v_fma_f64 v[6:7], v[12:13], v[6:7], -v[8:9]
	s_delay_alu instid0(VALU_DEP_3) | instskip(NEXT) | instid1(VALU_DEP_3)
	v_div_fmas_f64 v[8:9], v[14:15], v[42:43], v[32:33]
	v_mul_f64_e32 v[4:5], v[16:17], v[4:5]
	s_delay_alu instid0(VALU_DEP_2) | instskip(NEXT) | instid1(VALU_DEP_2)
	v_div_fixup_f64 v[2:3], v[8:9], v[2:3], v[26:27]
	v_fmac_f64_e32 v[4:5], v[16:17], v[6:7]
	s_delay_alu instid0(VALU_DEP_1)
	v_add_f64_e32 v[2:3], v[2:3], v[4:5]
	global_store_b64 v[0:1], v[2:3], off
.LBB2_2:
	s_endpgm
	.section	.rodata,"a",@progbits
	.p2align	6, 0x0
	.amdhsa_kernel _ZN4RAJA6policy3hip4impl18forallp_hip_kernelINS1_8hip_execINS_17iteration_mapping6DirectENS_3hip11IndexGlobalILNS_9named_dimE0ELi256ELi0EEENS7_40AvoidDeviceMaxThreadOccupancyConcretizerINS7_34FractionOffsetOccupancyConcretizerINS_8FractionImLm1ELm1EEELln1EEEEELb1EEEPlZN8rajaperf4apps14DEL_DOT_VEC_2D17runHipVariantImplILm256EEEvNSJ_9VariantIDEEUllE0_lNS_4expt15ForallParamPackIJEEES6_SA_TnNSt9enable_ifIXaasr3std10is_base_ofINS5_10DirectBaseET4_EE5valuegtsrT5_10block_sizeLi0EEmE4typeELm256EEEvT1_T0_T2_T3_
		.amdhsa_group_segment_fixed_size 0
		.amdhsa_private_segment_fixed_size 0
		.amdhsa_kernarg_size 172
		.amdhsa_user_sgpr_count 2
		.amdhsa_user_sgpr_dispatch_ptr 0
		.amdhsa_user_sgpr_queue_ptr 0
		.amdhsa_user_sgpr_kernarg_segment_ptr 1
		.amdhsa_user_sgpr_dispatch_id 0
		.amdhsa_user_sgpr_kernarg_preload_length 0
		.amdhsa_user_sgpr_kernarg_preload_offset 0
		.amdhsa_user_sgpr_private_segment_size 0
		.amdhsa_wavefront_size32 1
		.amdhsa_uses_dynamic_stack 0
		.amdhsa_enable_private_segment 0
		.amdhsa_system_sgpr_workgroup_id_x 1
		.amdhsa_system_sgpr_workgroup_id_y 0
		.amdhsa_system_sgpr_workgroup_id_z 0
		.amdhsa_system_sgpr_workgroup_info 0
		.amdhsa_system_vgpr_workitem_id 0
		.amdhsa_next_free_vgpr 48
		.amdhsa_next_free_sgpr 24
		.amdhsa_named_barrier_count 0
		.amdhsa_reserve_vcc 1
		.amdhsa_float_round_mode_32 0
		.amdhsa_float_round_mode_16_64 0
		.amdhsa_float_denorm_mode_32 3
		.amdhsa_float_denorm_mode_16_64 3
		.amdhsa_fp16_overflow 0
		.amdhsa_memory_ordered 1
		.amdhsa_forward_progress 1
		.amdhsa_inst_pref_size 8
		.amdhsa_round_robin_scheduling 0
		.amdhsa_exception_fp_ieee_invalid_op 0
		.amdhsa_exception_fp_denorm_src 0
		.amdhsa_exception_fp_ieee_div_zero 0
		.amdhsa_exception_fp_ieee_overflow 0
		.amdhsa_exception_fp_ieee_underflow 0
		.amdhsa_exception_fp_ieee_inexact 0
		.amdhsa_exception_int_div_zero 0
	.end_amdhsa_kernel
	.section	.text._ZN4RAJA6policy3hip4impl18forallp_hip_kernelINS1_8hip_execINS_17iteration_mapping6DirectENS_3hip11IndexGlobalILNS_9named_dimE0ELi256ELi0EEENS7_40AvoidDeviceMaxThreadOccupancyConcretizerINS7_34FractionOffsetOccupancyConcretizerINS_8FractionImLm1ELm1EEELln1EEEEELb1EEEPlZN8rajaperf4apps14DEL_DOT_VEC_2D17runHipVariantImplILm256EEEvNSJ_9VariantIDEEUllE0_lNS_4expt15ForallParamPackIJEEES6_SA_TnNSt9enable_ifIXaasr3std10is_base_ofINS5_10DirectBaseET4_EE5valuegtsrT5_10block_sizeLi0EEmE4typeELm256EEEvT1_T0_T2_T3_,"axG",@progbits,_ZN4RAJA6policy3hip4impl18forallp_hip_kernelINS1_8hip_execINS_17iteration_mapping6DirectENS_3hip11IndexGlobalILNS_9named_dimE0ELi256ELi0EEENS7_40AvoidDeviceMaxThreadOccupancyConcretizerINS7_34FractionOffsetOccupancyConcretizerINS_8FractionImLm1ELm1EEELln1EEEEELb1EEEPlZN8rajaperf4apps14DEL_DOT_VEC_2D17runHipVariantImplILm256EEEvNSJ_9VariantIDEEUllE0_lNS_4expt15ForallParamPackIJEEES6_SA_TnNSt9enable_ifIXaasr3std10is_base_ofINS5_10DirectBaseET4_EE5valuegtsrT5_10block_sizeLi0EEmE4typeELm256EEEvT1_T0_T2_T3_,comdat
.Lfunc_end2:
	.size	_ZN4RAJA6policy3hip4impl18forallp_hip_kernelINS1_8hip_execINS_17iteration_mapping6DirectENS_3hip11IndexGlobalILNS_9named_dimE0ELi256ELi0EEENS7_40AvoidDeviceMaxThreadOccupancyConcretizerINS7_34FractionOffsetOccupancyConcretizerINS_8FractionImLm1ELm1EEELln1EEEEELb1EEEPlZN8rajaperf4apps14DEL_DOT_VEC_2D17runHipVariantImplILm256EEEvNSJ_9VariantIDEEUllE0_lNS_4expt15ForallParamPackIJEEES6_SA_TnNSt9enable_ifIXaasr3std10is_base_ofINS5_10DirectBaseET4_EE5valuegtsrT5_10block_sizeLi0EEmE4typeELm256EEEvT1_T0_T2_T3_, .Lfunc_end2-_ZN4RAJA6policy3hip4impl18forallp_hip_kernelINS1_8hip_execINS_17iteration_mapping6DirectENS_3hip11IndexGlobalILNS_9named_dimE0ELi256ELi0EEENS7_40AvoidDeviceMaxThreadOccupancyConcretizerINS7_34FractionOffsetOccupancyConcretizerINS_8FractionImLm1ELm1EEELln1EEEEELb1EEEPlZN8rajaperf4apps14DEL_DOT_VEC_2D17runHipVariantImplILm256EEEvNSJ_9VariantIDEEUllE0_lNS_4expt15ForallParamPackIJEEES6_SA_TnNSt9enable_ifIXaasr3std10is_base_ofINS5_10DirectBaseET4_EE5valuegtsrT5_10block_sizeLi0EEmE4typeELm256EEEvT1_T0_T2_T3_
                                        ; -- End function
	.set _ZN4RAJA6policy3hip4impl18forallp_hip_kernelINS1_8hip_execINS_17iteration_mapping6DirectENS_3hip11IndexGlobalILNS_9named_dimE0ELi256ELi0EEENS7_40AvoidDeviceMaxThreadOccupancyConcretizerINS7_34FractionOffsetOccupancyConcretizerINS_8FractionImLm1ELm1EEELln1EEEEELb1EEEPlZN8rajaperf4apps14DEL_DOT_VEC_2D17runHipVariantImplILm256EEEvNSJ_9VariantIDEEUllE0_lNS_4expt15ForallParamPackIJEEES6_SA_TnNSt9enable_ifIXaasr3std10is_base_ofINS5_10DirectBaseET4_EE5valuegtsrT5_10block_sizeLi0EEmE4typeELm256EEEvT1_T0_T2_T3_.num_vgpr, 48
	.set _ZN4RAJA6policy3hip4impl18forallp_hip_kernelINS1_8hip_execINS_17iteration_mapping6DirectENS_3hip11IndexGlobalILNS_9named_dimE0ELi256ELi0EEENS7_40AvoidDeviceMaxThreadOccupancyConcretizerINS7_34FractionOffsetOccupancyConcretizerINS_8FractionImLm1ELm1EEELln1EEEEELb1EEEPlZN8rajaperf4apps14DEL_DOT_VEC_2D17runHipVariantImplILm256EEEvNSJ_9VariantIDEEUllE0_lNS_4expt15ForallParamPackIJEEES6_SA_TnNSt9enable_ifIXaasr3std10is_base_ofINS5_10DirectBaseET4_EE5valuegtsrT5_10block_sizeLi0EEmE4typeELm256EEEvT1_T0_T2_T3_.num_agpr, 0
	.set _ZN4RAJA6policy3hip4impl18forallp_hip_kernelINS1_8hip_execINS_17iteration_mapping6DirectENS_3hip11IndexGlobalILNS_9named_dimE0ELi256ELi0EEENS7_40AvoidDeviceMaxThreadOccupancyConcretizerINS7_34FractionOffsetOccupancyConcretizerINS_8FractionImLm1ELm1EEELln1EEEEELb1EEEPlZN8rajaperf4apps14DEL_DOT_VEC_2D17runHipVariantImplILm256EEEvNSJ_9VariantIDEEUllE0_lNS_4expt15ForallParamPackIJEEES6_SA_TnNSt9enable_ifIXaasr3std10is_base_ofINS5_10DirectBaseET4_EE5valuegtsrT5_10block_sizeLi0EEmE4typeELm256EEEvT1_T0_T2_T3_.numbered_sgpr, 24
	.set _ZN4RAJA6policy3hip4impl18forallp_hip_kernelINS1_8hip_execINS_17iteration_mapping6DirectENS_3hip11IndexGlobalILNS_9named_dimE0ELi256ELi0EEENS7_40AvoidDeviceMaxThreadOccupancyConcretizerINS7_34FractionOffsetOccupancyConcretizerINS_8FractionImLm1ELm1EEELln1EEEEELb1EEEPlZN8rajaperf4apps14DEL_DOT_VEC_2D17runHipVariantImplILm256EEEvNSJ_9VariantIDEEUllE0_lNS_4expt15ForallParamPackIJEEES6_SA_TnNSt9enable_ifIXaasr3std10is_base_ofINS5_10DirectBaseET4_EE5valuegtsrT5_10block_sizeLi0EEmE4typeELm256EEEvT1_T0_T2_T3_.num_named_barrier, 0
	.set _ZN4RAJA6policy3hip4impl18forallp_hip_kernelINS1_8hip_execINS_17iteration_mapping6DirectENS_3hip11IndexGlobalILNS_9named_dimE0ELi256ELi0EEENS7_40AvoidDeviceMaxThreadOccupancyConcretizerINS7_34FractionOffsetOccupancyConcretizerINS_8FractionImLm1ELm1EEELln1EEEEELb1EEEPlZN8rajaperf4apps14DEL_DOT_VEC_2D17runHipVariantImplILm256EEEvNSJ_9VariantIDEEUllE0_lNS_4expt15ForallParamPackIJEEES6_SA_TnNSt9enable_ifIXaasr3std10is_base_ofINS5_10DirectBaseET4_EE5valuegtsrT5_10block_sizeLi0EEmE4typeELm256EEEvT1_T0_T2_T3_.private_seg_size, 0
	.set _ZN4RAJA6policy3hip4impl18forallp_hip_kernelINS1_8hip_execINS_17iteration_mapping6DirectENS_3hip11IndexGlobalILNS_9named_dimE0ELi256ELi0EEENS7_40AvoidDeviceMaxThreadOccupancyConcretizerINS7_34FractionOffsetOccupancyConcretizerINS_8FractionImLm1ELm1EEELln1EEEEELb1EEEPlZN8rajaperf4apps14DEL_DOT_VEC_2D17runHipVariantImplILm256EEEvNSJ_9VariantIDEEUllE0_lNS_4expt15ForallParamPackIJEEES6_SA_TnNSt9enable_ifIXaasr3std10is_base_ofINS5_10DirectBaseET4_EE5valuegtsrT5_10block_sizeLi0EEmE4typeELm256EEEvT1_T0_T2_T3_.uses_vcc, 1
	.set _ZN4RAJA6policy3hip4impl18forallp_hip_kernelINS1_8hip_execINS_17iteration_mapping6DirectENS_3hip11IndexGlobalILNS_9named_dimE0ELi256ELi0EEENS7_40AvoidDeviceMaxThreadOccupancyConcretizerINS7_34FractionOffsetOccupancyConcretizerINS_8FractionImLm1ELm1EEELln1EEEEELb1EEEPlZN8rajaperf4apps14DEL_DOT_VEC_2D17runHipVariantImplILm256EEEvNSJ_9VariantIDEEUllE0_lNS_4expt15ForallParamPackIJEEES6_SA_TnNSt9enable_ifIXaasr3std10is_base_ofINS5_10DirectBaseET4_EE5valuegtsrT5_10block_sizeLi0EEmE4typeELm256EEEvT1_T0_T2_T3_.uses_flat_scratch, 0
	.set _ZN4RAJA6policy3hip4impl18forallp_hip_kernelINS1_8hip_execINS_17iteration_mapping6DirectENS_3hip11IndexGlobalILNS_9named_dimE0ELi256ELi0EEENS7_40AvoidDeviceMaxThreadOccupancyConcretizerINS7_34FractionOffsetOccupancyConcretizerINS_8FractionImLm1ELm1EEELln1EEEEELb1EEEPlZN8rajaperf4apps14DEL_DOT_VEC_2D17runHipVariantImplILm256EEEvNSJ_9VariantIDEEUllE0_lNS_4expt15ForallParamPackIJEEES6_SA_TnNSt9enable_ifIXaasr3std10is_base_ofINS5_10DirectBaseET4_EE5valuegtsrT5_10block_sizeLi0EEmE4typeELm256EEEvT1_T0_T2_T3_.has_dyn_sized_stack, 0
	.set _ZN4RAJA6policy3hip4impl18forallp_hip_kernelINS1_8hip_execINS_17iteration_mapping6DirectENS_3hip11IndexGlobalILNS_9named_dimE0ELi256ELi0EEENS7_40AvoidDeviceMaxThreadOccupancyConcretizerINS7_34FractionOffsetOccupancyConcretizerINS_8FractionImLm1ELm1EEELln1EEEEELb1EEEPlZN8rajaperf4apps14DEL_DOT_VEC_2D17runHipVariantImplILm256EEEvNSJ_9VariantIDEEUllE0_lNS_4expt15ForallParamPackIJEEES6_SA_TnNSt9enable_ifIXaasr3std10is_base_ofINS5_10DirectBaseET4_EE5valuegtsrT5_10block_sizeLi0EEmE4typeELm256EEEvT1_T0_T2_T3_.has_recursion, 0
	.set _ZN4RAJA6policy3hip4impl18forallp_hip_kernelINS1_8hip_execINS_17iteration_mapping6DirectENS_3hip11IndexGlobalILNS_9named_dimE0ELi256ELi0EEENS7_40AvoidDeviceMaxThreadOccupancyConcretizerINS7_34FractionOffsetOccupancyConcretizerINS_8FractionImLm1ELm1EEELln1EEEEELb1EEEPlZN8rajaperf4apps14DEL_DOT_VEC_2D17runHipVariantImplILm256EEEvNSJ_9VariantIDEEUllE0_lNS_4expt15ForallParamPackIJEEES6_SA_TnNSt9enable_ifIXaasr3std10is_base_ofINS5_10DirectBaseET4_EE5valuegtsrT5_10block_sizeLi0EEmE4typeELm256EEEvT1_T0_T2_T3_.has_indirect_call, 0
	.section	.AMDGPU.csdata,"",@progbits
; Kernel info:
; codeLenInByte = 1000
; TotalNumSgprs: 26
; NumVgprs: 48
; ScratchSize: 0
; MemoryBound: 0
; FloatMode: 240
; IeeeMode: 1
; LDSByteSize: 0 bytes/workgroup (compile time only)
; SGPRBlocks: 0
; VGPRBlocks: 2
; NumSGPRsForWavesPerEU: 26
; NumVGPRsForWavesPerEU: 48
; NamedBarCnt: 0
; Occupancy: 16
; WaveLimiterHint : 1
; COMPUTE_PGM_RSRC2:SCRATCH_EN: 0
; COMPUTE_PGM_RSRC2:USER_SGPR: 2
; COMPUTE_PGM_RSRC2:TRAP_HANDLER: 0
; COMPUTE_PGM_RSRC2:TGID_X_EN: 1
; COMPUTE_PGM_RSRC2:TGID_Y_EN: 0
; COMPUTE_PGM_RSRC2:TGID_Z_EN: 0
; COMPUTE_PGM_RSRC2:TIDIG_COMP_CNT: 0
	.section	.AMDGPU.gpr_maximums,"",@progbits
	.set amdgpu.max_num_vgpr, 0
	.set amdgpu.max_num_agpr, 0
	.set amdgpu.max_num_sgpr, 0
	.section	.AMDGPU.csdata,"",@progbits
	.type	__hip_cuid_4ea4bf27b6534b5e,@object ; @__hip_cuid_4ea4bf27b6534b5e
	.section	.bss,"aw",@nobits
	.globl	__hip_cuid_4ea4bf27b6534b5e
__hip_cuid_4ea4bf27b6534b5e:
	.byte	0                               ; 0x0
	.size	__hip_cuid_4ea4bf27b6534b5e, 1

	.ident	"AMD clang version 22.0.0git (https://github.com/RadeonOpenCompute/llvm-project roc-7.2.4 26084 f58b06dce1f9c15707c5f808fd002e18c2accf7e)"
	.section	".note.GNU-stack","",@progbits
	.addrsig
	.addrsig_sym __hip_cuid_4ea4bf27b6534b5e
	.amdgpu_metadata
---
amdhsa.kernels:
  - .args:
      - .address_space:  global
        .offset:         0
        .size:           8
        .value_kind:     global_buffer
      - .address_space:  global
        .offset:         8
        .size:           8
        .value_kind:     global_buffer
      - .address_space:  global
        .offset:         16
        .size:           8
        .value_kind:     global_buffer
      - .address_space:  global
        .offset:         24
        .size:           8
        .value_kind:     global_buffer
      - .address_space:  global
        .offset:         32
        .size:           8
        .value_kind:     global_buffer
      - .address_space:  global
        .offset:         40
        .size:           8
        .value_kind:     global_buffer
      - .address_space:  global
        .offset:         48
        .size:           8
        .value_kind:     global_buffer
      - .address_space:  global
        .offset:         56
        .size:           8
        .value_kind:     global_buffer
      - .address_space:  global
        .offset:         64
        .size:           8
        .value_kind:     global_buffer
      - .address_space:  global
        .offset:         72
        .size:           8
        .value_kind:     global_buffer
      - .address_space:  global
        .offset:         80
        .size:           8
        .value_kind:     global_buffer
      - .address_space:  global
        .offset:         88
        .size:           8
        .value_kind:     global_buffer
      - .address_space:  global
        .offset:         96
        .size:           8
        .value_kind:     global_buffer
      - .address_space:  global
        .offset:         104
        .size:           8
        .value_kind:     global_buffer
      - .address_space:  global
        .offset:         112
        .size:           8
        .value_kind:     global_buffer
      - .address_space:  global
        .offset:         120
        .size:           8
        .value_kind:     global_buffer
      - .address_space:  global
        .offset:         128
        .size:           8
        .value_kind:     global_buffer
      - .address_space:  global
        .offset:         136
        .size:           8
        .value_kind:     global_buffer
      - .offset:         144
        .size:           8
        .value_kind:     by_value
      - .offset:         152
        .size:           8
        .value_kind:     by_value
      - .offset:         160
        .size:           8
        .value_kind:     by_value
    .group_segment_fixed_size: 0
    .kernarg_segment_align: 8
    .kernarg_segment_size: 168
    .language:       OpenCL C
    .language_version:
      - 2
      - 0
    .max_flat_workgroup_size: 256
    .name:           _ZN8rajaperf4apps11deldotvec2dILm256EEEvPdS2_S2_S2_S2_S2_S2_S2_S2_S2_S2_S2_S2_S2_S2_S2_S2_Plddl
    .private_segment_fixed_size: 0
    .sgpr_count:     34
    .sgpr_spill_count: 0
    .symbol:         _ZN8rajaperf4apps11deldotvec2dILm256EEEvPdS2_S2_S2_S2_S2_S2_S2_S2_S2_S2_S2_S2_S2_S2_S2_S2_Plddl.kd
    .uniform_work_group_size: 1
    .uses_dynamic_stack: false
    .vgpr_count:     48
    .vgpr_spill_count: 0
    .wavefront_size: 32
  - .args:
      - .offset:         0
        .size:           8
        .value_kind:     by_value
      - .offset:         8
        .size:           8
        .value_kind:     by_value
      - .offset:         16
        .size:           160
        .value_kind:     by_value
    .group_segment_fixed_size: 0
    .kernarg_segment_align: 8
    .kernarg_segment_size: 176
    .language:       OpenCL C
    .language_version:
      - 2
      - 0
    .max_flat_workgroup_size: 256
    .name:           _ZN8rajaperf17lambda_hip_forallILm256EZNS_4apps14DEL_DOT_VEC_2D17runHipVariantImplILm256EEEvNS_9VariantIDEEUllE_EEvllT0_
    .private_segment_fixed_size: 0
    .sgpr_count:     34
    .sgpr_spill_count: 0
    .symbol:         _ZN8rajaperf17lambda_hip_forallILm256EZNS_4apps14DEL_DOT_VEC_2D17runHipVariantImplILm256EEEvNS_9VariantIDEEUllE_EEvllT0_.kd
    .uniform_work_group_size: 1
    .uses_dynamic_stack: false
    .vgpr_count:     48
    .vgpr_spill_count: 0
    .wavefront_size: 32
  - .args:
      - .offset:         0
        .size:           152
        .value_kind:     by_value
      - .address_space:  global
        .offset:         152
        .size:           8
        .value_kind:     global_buffer
      - .offset:         160
        .size:           8
        .value_kind:     by_value
      - .offset:         168
        .size:           1
        .value_kind:     by_value
    .group_segment_fixed_size: 0
    .kernarg_segment_align: 8
    .kernarg_segment_size: 172
    .language:       OpenCL C
    .language_version:
      - 2
      - 0
    .max_flat_workgroup_size: 256
    .name:           _ZN4RAJA6policy3hip4impl18forallp_hip_kernelINS1_8hip_execINS_17iteration_mapping6DirectENS_3hip11IndexGlobalILNS_9named_dimE0ELi256ELi0EEENS7_40AvoidDeviceMaxThreadOccupancyConcretizerINS7_34FractionOffsetOccupancyConcretizerINS_8FractionImLm1ELm1EEELln1EEEEELb1EEEPlZN8rajaperf4apps14DEL_DOT_VEC_2D17runHipVariantImplILm256EEEvNSJ_9VariantIDEEUllE0_lNS_4expt15ForallParamPackIJEEES6_SA_TnNSt9enable_ifIXaasr3std10is_base_ofINS5_10DirectBaseET4_EE5valuegtsrT5_10block_sizeLi0EEmE4typeELm256EEEvT1_T0_T2_T3_
    .private_segment_fixed_size: 0
    .sgpr_count:     26
    .sgpr_spill_count: 0
    .symbol:         _ZN4RAJA6policy3hip4impl18forallp_hip_kernelINS1_8hip_execINS_17iteration_mapping6DirectENS_3hip11IndexGlobalILNS_9named_dimE0ELi256ELi0EEENS7_40AvoidDeviceMaxThreadOccupancyConcretizerINS7_34FractionOffsetOccupancyConcretizerINS_8FractionImLm1ELm1EEELln1EEEEELb1EEEPlZN8rajaperf4apps14DEL_DOT_VEC_2D17runHipVariantImplILm256EEEvNSJ_9VariantIDEEUllE0_lNS_4expt15ForallParamPackIJEEES6_SA_TnNSt9enable_ifIXaasr3std10is_base_ofINS5_10DirectBaseET4_EE5valuegtsrT5_10block_sizeLi0EEmE4typeELm256EEEvT1_T0_T2_T3_.kd
    .uniform_work_group_size: 1
    .uses_dynamic_stack: false
    .vgpr_count:     48
    .vgpr_spill_count: 0
    .wavefront_size: 32
amdhsa.target:   amdgcn-amd-amdhsa--gfx1250
amdhsa.version:
  - 1
  - 2
...

	.end_amdgpu_metadata
